;; amdgpu-corpus repo=zjin-lcf/HeCBench kind=compiled arch=gfx950 opt=O3
	.amdgcn_target "amdgcn-amd-amdhsa--gfx950"
	.amdhsa_code_object_version 6
	.text
	.protected	_Z7softMaxiiPKfPf       ; -- Begin function _Z7softMaxiiPKfPf
	.globl	_Z7softMaxiiPKfPf
	.p2align	8
	.type	_Z7softMaxiiPKfPf,@function
_Z7softMaxiiPKfPf:                      ; @_Z7softMaxiiPKfPf
; %bb.0:
	s_load_dword s3, s[0:1], 0x24
	s_load_dwordx2 s[8:9], s[0:1], 0x0
	s_waitcnt lgkmcnt(0)
	s_and_b32 s3, s3, 0xffff
	s_mul_i32 s2, s2, s3
	v_add_u32_e32 v0, s2, v0
	v_cmp_gt_i32_e32 vcc, s8, v0
	s_and_saveexec_b64 s[2:3], vcc
	s_cbranch_execz .LBB0_14
; %bb.1:
	s_cmp_lt_i32 s9, 1
	s_cbranch_scc1 .LBB0_14
; %bb.2:
	s_load_dwordx4 s[4:7], s[0:1], 0x8
	v_mul_lo_u32 v2, v0, s9
	v_ashrrev_i32_e32 v3, 31, v2
	s_cmp_eq_u32 s9, 1
	s_waitcnt lgkmcnt(0)
	v_lshl_add_u64 v[0:1], v[2:3], 2, s[4:5]
	global_load_dword v8, v[0:1], off
	s_cbranch_scc1 .LBB0_6
; %bb.3:
	s_and_b32 s8, s9, 0x7ffffffe
	s_add_i32 s12, s8, -2
	s_mov_b32 s10, 0
	s_mov_b64 s[2:3], 0
	s_waitcnt vmcnt(0)
	v_mov_b32_e32 v7, v8
                                        ; implicit-def: $sgpr0_sgpr1
.LBB0_4:                                ; =>This Inner Loop Header: Depth=1
	s_ashr_i32 s11, s10, 31
	v_lshl_add_u64 v[4:5], s[10:11], 2, v[0:1]
	global_load_dwordx2 v[10:11], v[4:5], off
	v_mov_b32_e32 v5, v7
	v_max_f32_e32 v7, v5, v5
	s_add_i32 s11, s10, 2
	s_cmp_eq_u32 s12, s10
	s_cselect_b64 s[14:15], -1, 0
	v_mov_b32_e32 v4, v8
	v_max_f32_e32 v8, v4, v4
	v_mov_b32_e32 v6, s10
	s_mov_b32 s10, s11
	s_waitcnt vmcnt(0)
	v_cmp_u_f32_e32 vcc, v11, v11
	v_max_f32_e32 v9, v11, v11
	s_nop 0
	v_cndmask_b32_e64 v11, 0, 1, vcc
	v_cmp_u_f32_e32 vcc, v10, v10
	v_max_f32_e32 v12, v10, v10
	v_max_f32_e32 v7, v7, v9
	v_cndmask_b32_e64 v10, 0, 1, vcc
	v_lshlrev_b16_e32 v9, 1, v11
	v_bitop3_b16 v9, v10, 3, v9 bitop3:0xc8
	v_cmp_ne_u16_e32 vcc, 0, v9
	s_or_b64 s[14:15], vcc, s[14:15]
	s_and_b64 s[14:15], exec, s[14:15]
	s_or_b64 s[2:3], s[14:15], s[2:3]
	s_andn2_b64 s[0:1], s[0:1], exec
	s_and_b64 s[14:15], vcc, exec
	v_max_f32_e32 v8, v8, v12
	s_or_b64 s[0:1], s[0:1], s[14:15]
	s_andn2_b64 exec, exec, s[2:3]
	s_cbranch_execnz .LBB0_4
; %bb.5:
	s_or_b64 exec, exec, s[2:3]
	v_cndmask_b32_e64 v8, v8, v4, s[0:1]
	v_cndmask_b32_e64 v5, v7, v5, s[0:1]
	v_mov_b32_e32 v4, s8
	s_cmp_lg_u32 s9, s8
	v_cndmask_b32_e64 v4, v4, v6, s[0:1]
	v_max_f32_e32 v5, v5, v5
	v_max_f32_e32 v6, v8, v8
	s_cselect_b64 s[2:3], -1, 0
	v_max_f32_e32 v8, v6, v5
	s_or_b64 s[2:3], s[2:3], s[0:1]
	s_and_saveexec_b64 s[0:1], s[2:3]
	s_cbranch_execnz .LBB0_7
	s_branch .LBB0_10
.LBB0_6:
	s_mov_b64 s[2:3], -1
	v_mov_b32_e32 v4, 0
	s_and_saveexec_b64 s[0:1], s[2:3]
	s_cbranch_execz .LBB0_10
.LBB0_7:
	v_ashrrev_i32_e32 v5, 31, v4
	v_lshlrev_b64 v[6:7], 2, v[2:3]
	v_lshl_add_u64 v[6:7], v[4:5], 2, v[6:7]
	v_lshl_add_u64 v[6:7], s[4:5], 0, v[6:7]
	v_sub_u32_e32 v4, s9, v4
	s_mov_b64 s[2:3], 0
.LBB0_8:                                ; =>This Inner Loop Header: Depth=1
	global_load_dword v5, v[6:7], off
	v_add_u32_e32 v4, -1, v4
	s_waitcnt vmcnt(1)
	v_max_f32_e32 v8, v8, v8
	v_cmp_eq_u32_e32 vcc, 0, v4
	v_lshl_add_u64 v[6:7], v[6:7], 0, 4
	s_or_b64 s[2:3], vcc, s[2:3]
	s_waitcnt vmcnt(0)
	v_max_f32_e32 v5, v5, v5
	v_max_f32_e32 v8, v8, v5
	s_andn2_b64 exec, exec, s[2:3]
	s_cbranch_execnz .LBB0_8
; %bb.9:
	s_or_b64 exec, exec, s[2:3]
.LBB0_10:
	s_or_b64 exec, exec, s[0:1]
	v_mov_b32_e32 v6, 0
	s_mov_b32 s0, 0x3fb8aa3b
	s_mov_b32 s1, 0xc2ce8ed0
	;; [unrolled: 1-line block ×3, first 2 shown]
	v_mov_b32_e32 v7, 0x7f800000
	s_mov_b32 s3, s9
	v_mov_b64_e32 v[4:5], v[0:1]
.LBB0_11:                               ; =>This Inner Loop Header: Depth=1
	global_load_dword v9, v[4:5], off
	s_add_i32 s3, s3, -1
	v_lshl_add_u64 v[4:5], v[4:5], 0, 4
	s_cmp_lg_u32 s3, 0
	s_waitcnt vmcnt(0)
	v_sub_f32_e32 v9, v9, v8
	v_mul_f32_e32 v10, 0x3fb8aa3b, v9
	v_fma_f32 v11, v9, s0, -v10
	v_rndne_f32_e32 v12, v10
	v_fmac_f32_e32 v11, 0x32a5705f, v9
	v_sub_f32_e32 v10, v10, v12
	v_add_f32_e32 v10, v10, v11
	v_cvt_i32_f32_e32 v12, v12
	v_exp_f32_e32 v10, v10
	v_cmp_ngt_f32_e32 vcc, s1, v9
	v_ldexp_f32 v10, v10, v12
	s_nop 0
	v_cndmask_b32_e32 v10, 0, v10, vcc
	v_cmp_nlt_f32_e32 vcc, s2, v9
	s_nop 1
	v_cndmask_b32_e32 v9, v7, v10, vcc
	v_add_f32_e32 v6, v6, v9
	s_cbranch_scc1 .LBB0_11
; %bb.12:
	v_mov_b32_e32 v4, s6
	v_mov_b32_e32 v5, s7
	v_lshl_add_u64 v[2:3], v[2:3], 2, v[4:5]
	s_mov_b32 s0, 0x3fb8aa3b
	s_mov_b32 s1, 0xc2ce8ed0
	s_mov_b32 s2, 0x42b17218
	v_mov_b32_e32 v4, 0x7f800000
.LBB0_13:                               ; =>This Inner Loop Header: Depth=1
	global_load_dword v5, v[0:1], off
	s_add_i32 s9, s9, -1
	v_lshl_add_u64 v[0:1], v[0:1], 0, 4
	s_cmp_lg_u32 s9, 0
	s_waitcnt vmcnt(0)
	v_sub_f32_e32 v5, v5, v8
	v_mul_f32_e32 v7, 0x3fb8aa3b, v5
	v_fma_f32 v9, v5, s0, -v7
	v_rndne_f32_e32 v10, v7
	v_fmac_f32_e32 v9, 0x32a5705f, v5
	v_sub_f32_e32 v7, v7, v10
	v_add_f32_e32 v7, v7, v9
	v_cvt_i32_f32_e32 v10, v10
	v_exp_f32_e32 v7, v7
	v_cmp_ngt_f32_e32 vcc, s1, v5
	v_ldexp_f32 v7, v7, v10
	s_nop 0
	v_cndmask_b32_e32 v7, 0, v7, vcc
	v_cmp_nlt_f32_e32 vcc, s2, v5
	s_nop 1
	v_cndmask_b32_e32 v5, v4, v7, vcc
	v_div_scale_f32 v7, s[4:5], v6, v6, v5
	v_rcp_f32_e32 v9, v7
	v_div_scale_f32 v10, vcc, v5, v6, v5
	v_fma_f32 v11, -v7, v9, 1.0
	v_fmac_f32_e32 v9, v11, v9
	v_mul_f32_e32 v11, v10, v9
	v_fma_f32 v12, -v7, v11, v10
	v_fmac_f32_e32 v11, v12, v9
	v_fma_f32 v7, -v7, v11, v10
	v_div_fmas_f32 v7, v7, v9, v11
	v_div_fixup_f32 v5, v7, v6, v5
	global_store_dword v[2:3], v5, off
	v_lshl_add_u64 v[2:3], v[2:3], 0, 4
	s_cbranch_scc1 .LBB0_13
.LBB0_14:
	s_endpgm
	.section	.rodata,"a",@progbits
	.p2align	6, 0x0
	.amdhsa_kernel _Z7softMaxiiPKfPf
		.amdhsa_group_segment_fixed_size 0
		.amdhsa_private_segment_fixed_size 0
		.amdhsa_kernarg_size 280
		.amdhsa_user_sgpr_count 2
		.amdhsa_user_sgpr_dispatch_ptr 0
		.amdhsa_user_sgpr_queue_ptr 0
		.amdhsa_user_sgpr_kernarg_segment_ptr 1
		.amdhsa_user_sgpr_dispatch_id 0
		.amdhsa_user_sgpr_kernarg_preload_length 0
		.amdhsa_user_sgpr_kernarg_preload_offset 0
		.amdhsa_user_sgpr_private_segment_size 0
		.amdhsa_uses_dynamic_stack 0
		.amdhsa_enable_private_segment 0
		.amdhsa_system_sgpr_workgroup_id_x 1
		.amdhsa_system_sgpr_workgroup_id_y 0
		.amdhsa_system_sgpr_workgroup_id_z 0
		.amdhsa_system_sgpr_workgroup_info 0
		.amdhsa_system_vgpr_workitem_id 0
		.amdhsa_next_free_vgpr 13
		.amdhsa_next_free_sgpr 16
		.amdhsa_accum_offset 16
		.amdhsa_reserve_vcc 1
		.amdhsa_float_round_mode_32 0
		.amdhsa_float_round_mode_16_64 0
		.amdhsa_float_denorm_mode_32 3
		.amdhsa_float_denorm_mode_16_64 3
		.amdhsa_dx10_clamp 1
		.amdhsa_ieee_mode 1
		.amdhsa_fp16_overflow 0
		.amdhsa_tg_split 0
		.amdhsa_exception_fp_ieee_invalid_op 0
		.amdhsa_exception_fp_denorm_src 0
		.amdhsa_exception_fp_ieee_div_zero 0
		.amdhsa_exception_fp_ieee_overflow 0
		.amdhsa_exception_fp_ieee_underflow 0
		.amdhsa_exception_fp_ieee_inexact 0
		.amdhsa_exception_int_div_zero 0
	.end_amdhsa_kernel
	.text
.Lfunc_end0:
	.size	_Z7softMaxiiPKfPf, .Lfunc_end0-_Z7softMaxiiPKfPf
                                        ; -- End function
	.set _Z7softMaxiiPKfPf.num_vgpr, 13
	.set _Z7softMaxiiPKfPf.num_agpr, 0
	.set _Z7softMaxiiPKfPf.numbered_sgpr, 16
	.set _Z7softMaxiiPKfPf.num_named_barrier, 0
	.set _Z7softMaxiiPKfPf.private_seg_size, 0
	.set _Z7softMaxiiPKfPf.uses_vcc, 1
	.set _Z7softMaxiiPKfPf.uses_flat_scratch, 0
	.set _Z7softMaxiiPKfPf.has_dyn_sized_stack, 0
	.set _Z7softMaxiiPKfPf.has_recursion, 0
	.set _Z7softMaxiiPKfPf.has_indirect_call, 0
	.section	.AMDGPU.csdata,"",@progbits
; Kernel info:
; codeLenInByte = 880
; TotalNumSgprs: 22
; NumVgprs: 13
; NumAgprs: 0
; TotalNumVgprs: 13
; ScratchSize: 0
; MemoryBound: 0
; FloatMode: 240
; IeeeMode: 1
; LDSByteSize: 0 bytes/workgroup (compile time only)
; SGPRBlocks: 2
; VGPRBlocks: 1
; NumSGPRsForWavesPerEU: 22
; NumVGPRsForWavesPerEU: 13
; AccumOffset: 16
; Occupancy: 8
; WaveLimiterHint : 0
; COMPUTE_PGM_RSRC2:SCRATCH_EN: 0
; COMPUTE_PGM_RSRC2:USER_SGPR: 2
; COMPUTE_PGM_RSRC2:TRAP_HANDLER: 0
; COMPUTE_PGM_RSRC2:TGID_X_EN: 1
; COMPUTE_PGM_RSRC2:TGID_Y_EN: 0
; COMPUTE_PGM_RSRC2:TGID_Z_EN: 0
; COMPUTE_PGM_RSRC2:TIDIG_COMP_CNT: 0
; COMPUTE_PGM_RSRC3_GFX90A:ACCUM_OFFSET: 3
; COMPUTE_PGM_RSRC3_GFX90A:TG_SPLIT: 0
	.text
	.protected	_Z8softMax2iiPKfPf      ; -- Begin function _Z8softMax2iiPKfPf
	.globl	_Z8softMax2iiPKfPf
	.p2align	8
	.type	_Z8softMax2iiPKfPf,@function
_Z8softMax2iiPKfPf:                     ; @_Z8softMax2iiPKfPf
; %bb.0:
	s_load_dwordx2 s[10:11], s[0:1], 0x24
	s_load_dwordx2 s[8:9], s[0:1], 0x0
	v_bfe_u32 v1, v0, 10, 10
	v_bfe_u32 v2, v0, 20, 10
	v_and_b32_e32 v4, 0x3ff, v0
	s_waitcnt lgkmcnt(0)
	s_lshr_b32 s4, s10, 16
	s_and_b32 s5, s10, 0xffff
	s_and_b32 s3, s11, 0xffff
	s_mul_i32 s6, s4, s5
	s_mul_i32 s3, s6, s3
	v_mad_u32_u24 v10, v2, s4, v1
	s_add_i32 s3, s3, 63
	v_mad_u64_u32 v[0:1], s[4:5], v10, s5, v[4:5]
	s_lshr_b32 s3, s3, 6
	v_lshrrev_b32_e32 v1, 6, v0
	s_mul_i32 s3, s3, s2
	v_add_u32_e32 v1, s3, v1
	v_cmp_gt_i32_e32 vcc, s8, v1
	s_and_saveexec_b64 s[2:3], vcc
	s_cbranch_execz .LBB1_18
; %bb.1:
	s_load_dwordx4 s[4:7], s[0:1], 0x8
	v_mul_lo_u32 v2, v1, s9
	v_ashrrev_i32_e32 v3, 31, v2
	v_and_b32_e32 v0, 63, v0
	v_cmp_gt_i32_e32 vcc, s9, v0
	s_waitcnt lgkmcnt(0)
	v_lshl_add_u64 v[6:7], v[2:3], 2, s[4:5]
	global_load_dword v11, v[6:7], off
	s_and_saveexec_b64 s[12:13], vcc
	s_cbranch_execz .LBB1_11
; %bb.2:
	v_xad_u32 v1, v0, -1, s9
	v_cmp_lt_u32_e64 s[0:1], 63, v1
	s_mov_b64 s[16:17], -1
	v_mov_b32_e32 v6, v0
	s_and_saveexec_b64 s[14:15], s[0:1]
	s_cbranch_execz .LBB1_6
; %bb.3:
	v_lshrrev_b32_e32 v1, 6, v1
	v_add_u32_e32 v7, 1, v1
	v_or_b32_e32 v1, 64, v0
	v_and_b32_e32 v12, 0x7fffffe, v7
	v_mov_b32_e32 v6, v2
	v_mov_b32_e32 v5, v2
	s_mov_b32 s8, 2
	s_mov_b64 s[18:19], 0
	v_mov_b64_e32 v[8:9], v[0:1]
	s_waitcnt vmcnt(0)
	v_mov_b32_e32 v14, v11
                                        ; implicit-def: $sgpr16_sgpr17
.LBB1_4:                                ; =>This Inner Loop Header: Depth=1
	v_add_u32_e32 v18, v9, v5
	v_add_u32_e32 v16, v8, v6
	v_ashrrev_i32_e32 v19, 31, v18
	v_ashrrev_i32_e32 v17, 31, v16
	v_lshl_add_u64 v[18:19], v[18:19], 2, s[4:5]
	v_lshl_add_u64 v[16:17], v[16:17], 2, s[4:5]
	global_load_dword v20, v[18:19], off
	global_load_dword v21, v[16:17], off
	v_mov_b32_e32 v1, v11
	v_mov_b32_e32 v13, v14
	v_max_f32_e32 v11, v13, v13
	v_max_f32_e32 v16, v1, v1
	v_cmp_eq_u32_e64 s[0:1], s8, v12
	s_add_i32 s8, s8, 2
	v_add_u32_e32 v9, 0x80, v9
	v_add_u32_e32 v8, 0x80, v8
	v_mov_b32_e32 v15, s8
	s_waitcnt vmcnt(1)
	v_cmp_u_f32_e64 s[2:3], v20, v20
	v_max_f32_e32 v14, v20, v20
	s_waitcnt vmcnt(0)
	v_max_f32_e32 v17, v21, v21
	v_cndmask_b32_e64 v18, 0, 1, s[2:3]
	v_cmp_u_f32_e64 s[2:3], v21, v21
	v_max_f32_e32 v14, v11, v14
	v_max_f32_e32 v11, v16, v17
	v_cndmask_b32_e64 v19, 0, 1, s[2:3]
	v_lshlrev_b16_e32 v16, 1, v18
	v_bitop3_b16 v16, v19, 3, v16 bitop3:0xc8
	v_cmp_ne_u16_e64 s[2:3], 0, v16
	s_or_b64 s[0:1], s[2:3], s[0:1]
	s_and_b64 s[0:1], exec, s[0:1]
	s_or_b64 s[18:19], s[0:1], s[18:19]
	s_andn2_b64 s[0:1], s[16:17], exec
	s_and_b64 s[2:3], s[2:3], exec
	s_or_b64 s[16:17], s[0:1], s[2:3]
	s_andn2_b64 exec, exec, s[18:19]
	s_cbranch_execnz .LBB1_4
; %bb.5:
	s_or_b64 exec, exec, s[18:19]
	v_add_u32_e32 v5, -4, v15
	v_cndmask_b32_e64 v1, v11, v1, s[16:17]
	v_cndmask_b32_e64 v6, v14, v13, s[16:17]
	v_cmp_ne_u32_e64 s[0:1], v7, v12
	v_cndmask_b32_e64 v5, v12, v5, s[16:17]
	v_max_f32_e32 v6, v6, v6
	v_max_f32_e32 v1, v1, v1
	s_or_b64 s[0:1], s[0:1], s[16:17]
	v_max_f32_e32 v11, v1, v6
	v_lshl_or_b32 v6, v5, 6, v0
	s_orn2_b64 s[16:17], s[0:1], exec
.LBB1_6:
	s_or_b64 exec, exec, s[14:15]
	s_and_saveexec_b64 s[2:3], s[16:17]
	s_cbranch_execz .LBB1_10
; %bb.7:
	v_ashrrev_i32_e32 v7, 31, v6
	v_lshlrev_b64 v[8:9], 2, v[2:3]
	v_lshl_add_u64 v[8:9], v[6:7], 2, v[8:9]
	v_lshl_add_u64 v[8:9], s[4:5], 0, v[8:9]
	s_mov_b64 s[14:15], 0
	s_mov_b64 s[16:17], 0x100
.LBB1_8:                                ; =>This Inner Loop Header: Depth=1
	global_load_dword v1, v[8:9], off
	v_add_u32_e32 v6, 64, v6
	s_waitcnt vmcnt(1)
	v_max_f32_e32 v5, v11, v11
	v_cmp_le_i32_e64 s[0:1], s9, v6
	v_lshl_add_u64 v[8:9], v[8:9], 0, s[16:17]
	s_or_b64 s[14:15], s[0:1], s[14:15]
	s_waitcnt vmcnt(0)
	v_max_f32_e32 v1, v1, v1
	v_max_f32_e32 v11, v5, v1
	s_andn2_b64 exec, exec, s[14:15]
	s_cbranch_execnz .LBB1_8
; %bb.9:
	s_or_b64 exec, exec, s[14:15]
.LBB1_10:
	s_or_b64 exec, exec, s[2:3]
.LBB1_11:
	s_or_b64 exec, exec, s[12:13]
	v_mbcnt_lo_u32_b32 v1, -1, 0
	v_mbcnt_hi_u32_b32 v1, -1, v1
	v_and_b32_e32 v5, 64, v1
	v_add_u32_e32 v5, 64, v5
	v_xor_b32_e32 v6, 32, v1
	v_cmp_lt_i32_e64 s[0:1], v6, v5
	v_xor_b32_e32 v9, 16, v1
	s_waitcnt vmcnt(0)
	v_max_f32_e32 v7, v11, v11
	v_cndmask_b32_e64 v6, v1, v6, s[0:1]
	v_lshlrev_b32_e32 v8, 2, v6
	ds_bpermute_b32 v6, v8, v11
	v_cmp_lt_i32_e64 s[0:1], v9, v5
	v_xor_b32_e32 v11, 8, v1
	v_xor_b32_e32 v12, 4, v1
	;; [unrolled: 1-line block ×3, first 2 shown]
	s_waitcnt lgkmcnt(0)
	v_max_f32_e32 v6, v6, v6
	v_max_f32_e32 v6, v7, v6
	v_cndmask_b32_e64 v7, v1, v9, s[0:1]
	v_lshlrev_b32_e32 v9, 2, v7
	ds_bpermute_b32 v7, v9, v6
	v_cmp_lt_i32_e64 s[0:1], v11, v5
	v_xor_b32_e32 v14, 1, v1
	v_mad_legacy_u16 v10, s10, v10, v4
	s_waitcnt lgkmcnt(0)
	v_max_f32_e32 v7, v7, v7
	v_max_f32_e32 v6, v6, v7
	v_cndmask_b32_e64 v7, v1, v11, s[0:1]
	v_lshlrev_b32_e32 v11, 2, v7
	ds_bpermute_b32 v7, v11, v6
	v_cmp_lt_i32_e64 s[0:1], v12, v5
	s_waitcnt lgkmcnt(0)
	v_max_f32_e32 v7, v7, v7
	v_max_f32_e32 v6, v6, v7
	v_cndmask_b32_e64 v7, v1, v12, s[0:1]
	v_lshlrev_b32_e32 v12, 2, v7
	ds_bpermute_b32 v7, v12, v6
	v_cmp_lt_i32_e64 s[0:1], v13, v5
	;; [unrolled: 7-line block ×3, first 2 shown]
	v_mov_b32_e32 v5, 0
	s_waitcnt lgkmcnt(0)
	v_max_f32_e32 v7, v7, v7
	v_cndmask_b32_e64 v1, v1, v14, s[0:1]
	v_max_f32_e32 v6, v6, v7
	v_lshlrev_b32_e32 v14, 2, v1
	ds_bpermute_b32 v1, v14, v6
	s_waitcnt lgkmcnt(0)
	v_max_f32_e32 v1, v1, v1
	v_max_f32_e32 v1, v6, v1
	s_and_saveexec_b64 s[2:3], vcc
	s_cbranch_execz .LBB1_15
; %bb.12:
	v_and_b32_e32 v4, 63, v10
	v_lshlrev_b32_e32 v4, 2, v4
	v_mov_b32_e32 v5, 0
	v_lshl_add_u64 v[6:7], v[2:3], 2, v[4:5]
	v_lshl_add_u64 v[6:7], s[4:5], 0, v[6:7]
	s_mov_b64 s[10:11], 0
	s_mov_b32 s8, 0x3fb8aa3b
	s_mov_b32 s14, 0xc2ce8ed0
	;; [unrolled: 1-line block ×3, first 2 shown]
	v_mov_b32_e32 v4, 0x7f800000
	s_mov_b64 s[12:13], 0x100
	v_mov_b32_e32 v15, v0
.LBB1_13:                               ; =>This Inner Loop Header: Depth=1
	global_load_dword v16, v[6:7], off
	v_add_u32_e32 v15, 64, v15
	v_cmp_le_i32_e64 s[0:1], s9, v15
	s_or_b64 s[10:11], s[0:1], s[10:11]
	v_lshl_add_u64 v[6:7], v[6:7], 0, s[12:13]
	s_waitcnt vmcnt(0)
	v_sub_f32_e32 v16, v16, v1
	v_mul_f32_e32 v17, 0x3fb8aa3b, v16
	v_fma_f32 v18, v16, s8, -v17
	v_rndne_f32_e32 v19, v17
	v_fmac_f32_e32 v18, 0x32a5705f, v16
	v_sub_f32_e32 v17, v17, v19
	v_add_f32_e32 v17, v17, v18
	v_cvt_i32_f32_e32 v19, v19
	v_exp_f32_e32 v17, v17
	v_cmp_ngt_f32_e64 s[0:1], s14, v16
	v_ldexp_f32 v17, v17, v19
	s_nop 0
	v_cndmask_b32_e64 v17, 0, v17, s[0:1]
	v_cmp_nlt_f32_e64 s[0:1], s15, v16
	s_nop 1
	v_cndmask_b32_e64 v16, v4, v17, s[0:1]
	v_add_f32_e32 v5, v5, v16
	s_andn2_b64 exec, exec, s[10:11]
	s_cbranch_execnz .LBB1_13
; %bb.14:
	s_or_b64 exec, exec, s[10:11]
.LBB1_15:
	s_or_b64 exec, exec, s[2:3]
	ds_bpermute_b32 v4, v8, v5
	s_waitcnt lgkmcnt(0)
	v_add_f32_e32 v4, v5, v4
	ds_bpermute_b32 v5, v9, v4
	s_waitcnt lgkmcnt(0)
	v_add_f32_e32 v4, v4, v5
	;; [unrolled: 3-line block ×5, first 2 shown]
	ds_bpermute_b32 v5, v14, v4
	s_and_b64 exec, exec, vcc
	s_cbranch_execz .LBB1_18
; %bb.16:
	s_waitcnt lgkmcnt(0)
	v_add_f32_e32 v6, v4, v5
	v_and_b32_e32 v4, 63, v10
	v_lshlrev_b32_e32 v4, 2, v4
	v_mov_b32_e32 v5, 0
	v_lshl_add_u64 v[4:5], v[2:3], 2, v[4:5]
	v_add_u32_e32 v2, v2, v0
	v_mov_b32_e32 v8, s6
	v_mov_b32_e32 v9, s7
	v_ashrrev_i32_e32 v3, 31, v2
	v_lshl_add_u64 v[4:5], s[4:5], 0, v[4:5]
	v_lshl_add_u64 v[2:3], v[2:3], 2, v[8:9]
	s_mov_b64 s[0:1], 0
	s_mov_b32 s4, 0x3fb8aa3b
	s_mov_b32 s5, 0xc2ce8ed0
	s_mov_b32 s6, 0x42b17218
	v_mov_b32_e32 v7, 0x7f800000
	s_mov_b64 s[2:3], 0x100
.LBB1_17:                               ; =>This Inner Loop Header: Depth=1
	global_load_dword v8, v[4:5], off
	v_add_u32_e32 v0, 64, v0
	v_cmp_le_i32_e32 vcc, s9, v0
	s_or_b64 s[0:1], vcc, s[0:1]
	v_lshl_add_u64 v[4:5], v[4:5], 0, s[2:3]
	s_waitcnt vmcnt(0)
	v_sub_f32_e32 v8, v8, v1
	v_mul_f32_e32 v9, 0x3fb8aa3b, v8
	v_fma_f32 v10, v8, s4, -v9
	v_rndne_f32_e32 v11, v9
	v_fmac_f32_e32 v10, 0x32a5705f, v8
	v_sub_f32_e32 v9, v9, v11
	v_add_f32_e32 v9, v9, v10
	v_cvt_i32_f32_e32 v11, v11
	v_exp_f32_e32 v9, v9
	v_cmp_ngt_f32_e32 vcc, s5, v8
	v_ldexp_f32 v9, v9, v11
	s_nop 0
	v_cndmask_b32_e32 v9, 0, v9, vcc
	v_cmp_nlt_f32_e32 vcc, s6, v8
	s_nop 1
	v_cndmask_b32_e32 v8, v7, v9, vcc
	v_div_scale_f32 v9, s[10:11], v6, v6, v8
	v_rcp_f32_e32 v10, v9
	v_div_scale_f32 v11, vcc, v8, v6, v8
	v_fma_f32 v12, -v9, v10, 1.0
	v_fmac_f32_e32 v10, v12, v10
	v_mul_f32_e32 v12, v11, v10
	v_fma_f32 v13, -v9, v12, v11
	v_fmac_f32_e32 v12, v13, v10
	v_fma_f32 v9, -v9, v12, v11
	v_div_fmas_f32 v9, v9, v10, v12
	v_div_fixup_f32 v8, v9, v6, v8
	global_store_dword v[2:3], v8, off
	v_lshl_add_u64 v[2:3], v[2:3], 0, s[2:3]
	s_andn2_b64 exec, exec, s[0:1]
	s_cbranch_execnz .LBB1_17
.LBB1_18:
	s_endpgm
	.section	.rodata,"a",@progbits
	.p2align	6, 0x0
	.amdhsa_kernel _Z8softMax2iiPKfPf
		.amdhsa_group_segment_fixed_size 0
		.amdhsa_private_segment_fixed_size 0
		.amdhsa_kernarg_size 280
		.amdhsa_user_sgpr_count 2
		.amdhsa_user_sgpr_dispatch_ptr 0
		.amdhsa_user_sgpr_queue_ptr 0
		.amdhsa_user_sgpr_kernarg_segment_ptr 1
		.amdhsa_user_sgpr_dispatch_id 0
		.amdhsa_user_sgpr_kernarg_preload_length 0
		.amdhsa_user_sgpr_kernarg_preload_offset 0
		.amdhsa_user_sgpr_private_segment_size 0
		.amdhsa_uses_dynamic_stack 0
		.amdhsa_enable_private_segment 0
		.amdhsa_system_sgpr_workgroup_id_x 1
		.amdhsa_system_sgpr_workgroup_id_y 0
		.amdhsa_system_sgpr_workgroup_id_z 0
		.amdhsa_system_sgpr_workgroup_info 0
		.amdhsa_system_vgpr_workitem_id 2
		.amdhsa_next_free_vgpr 22
		.amdhsa_next_free_sgpr 20
		.amdhsa_accum_offset 24
		.amdhsa_reserve_vcc 1
		.amdhsa_float_round_mode_32 0
		.amdhsa_float_round_mode_16_64 0
		.amdhsa_float_denorm_mode_32 3
		.amdhsa_float_denorm_mode_16_64 3
		.amdhsa_dx10_clamp 1
		.amdhsa_ieee_mode 1
		.amdhsa_fp16_overflow 0
		.amdhsa_tg_split 0
		.amdhsa_exception_fp_ieee_invalid_op 0
		.amdhsa_exception_fp_denorm_src 0
		.amdhsa_exception_fp_ieee_div_zero 0
		.amdhsa_exception_fp_ieee_overflow 0
		.amdhsa_exception_fp_ieee_underflow 0
		.amdhsa_exception_fp_ieee_inexact 0
		.amdhsa_exception_int_div_zero 0
	.end_amdhsa_kernel
	.text
.Lfunc_end1:
	.size	_Z8softMax2iiPKfPf, .Lfunc_end1-_Z8softMax2iiPKfPf
                                        ; -- End function
	.set _Z8softMax2iiPKfPf.num_vgpr, 22
	.set _Z8softMax2iiPKfPf.num_agpr, 0
	.set _Z8softMax2iiPKfPf.numbered_sgpr, 20
	.set _Z8softMax2iiPKfPf.num_named_barrier, 0
	.set _Z8softMax2iiPKfPf.private_seg_size, 0
	.set _Z8softMax2iiPKfPf.uses_vcc, 1
	.set _Z8softMax2iiPKfPf.uses_flat_scratch, 0
	.set _Z8softMax2iiPKfPf.has_dyn_sized_stack, 0
	.set _Z8softMax2iiPKfPf.has_recursion, 0
	.set _Z8softMax2iiPKfPf.has_indirect_call, 0
	.section	.AMDGPU.csdata,"",@progbits
; Kernel info:
; codeLenInByte = 1608
; TotalNumSgprs: 26
; NumVgprs: 22
; NumAgprs: 0
; TotalNumVgprs: 22
; ScratchSize: 0
; MemoryBound: 0
; FloatMode: 240
; IeeeMode: 1
; LDSByteSize: 0 bytes/workgroup (compile time only)
; SGPRBlocks: 3
; VGPRBlocks: 2
; NumSGPRsForWavesPerEU: 26
; NumVGPRsForWavesPerEU: 22
; AccumOffset: 24
; Occupancy: 8
; WaveLimiterHint : 0
; COMPUTE_PGM_RSRC2:SCRATCH_EN: 0
; COMPUTE_PGM_RSRC2:USER_SGPR: 2
; COMPUTE_PGM_RSRC2:TRAP_HANDLER: 0
; COMPUTE_PGM_RSRC2:TGID_X_EN: 1
; COMPUTE_PGM_RSRC2:TGID_Y_EN: 0
; COMPUTE_PGM_RSRC2:TGID_Z_EN: 0
; COMPUTE_PGM_RSRC2:TIDIG_COMP_CNT: 2
; COMPUTE_PGM_RSRC3_GFX90A:ACCUM_OFFSET: 5
; COMPUTE_PGM_RSRC3_GFX90A:TG_SPLIT: 0
	.text
	.p2alignl 6, 3212836864
	.fill 256, 4, 3212836864
	.section	.AMDGPU.gpr_maximums,"",@progbits
	.set amdgpu.max_num_vgpr, 0
	.set amdgpu.max_num_agpr, 0
	.set amdgpu.max_num_sgpr, 0
	.text
	.type	__hip_cuid_3cc1654913bff2f6,@object ; @__hip_cuid_3cc1654913bff2f6
	.section	.bss,"aw",@nobits
	.globl	__hip_cuid_3cc1654913bff2f6
__hip_cuid_3cc1654913bff2f6:
	.byte	0                               ; 0x0
	.size	__hip_cuid_3cc1654913bff2f6, 1

	.ident	"AMD clang version 22.0.0git (https://github.com/RadeonOpenCompute/llvm-project roc-7.2.4 26084 f58b06dce1f9c15707c5f808fd002e18c2accf7e)"
	.section	".note.GNU-stack","",@progbits
	.addrsig
	.addrsig_sym __hip_cuid_3cc1654913bff2f6
	.amdgpu_metadata
---
amdhsa.kernels:
  - .agpr_count:     0
    .args:
      - .offset:         0
        .size:           4
        .value_kind:     by_value
      - .offset:         4
        .size:           4
        .value_kind:     by_value
      - .address_space:  global
        .offset:         8
        .size:           8
        .value_kind:     global_buffer
      - .address_space:  global
        .offset:         16
        .size:           8
        .value_kind:     global_buffer
      - .offset:         24
        .size:           4
        .value_kind:     hidden_block_count_x
      - .offset:         28
        .size:           4
        .value_kind:     hidden_block_count_y
      - .offset:         32
        .size:           4
        .value_kind:     hidden_block_count_z
      - .offset:         36
        .size:           2
        .value_kind:     hidden_group_size_x
      - .offset:         38
        .size:           2
        .value_kind:     hidden_group_size_y
      - .offset:         40
        .size:           2
        .value_kind:     hidden_group_size_z
      - .offset:         42
        .size:           2
        .value_kind:     hidden_remainder_x
      - .offset:         44
        .size:           2
        .value_kind:     hidden_remainder_y
      - .offset:         46
        .size:           2
        .value_kind:     hidden_remainder_z
      - .offset:         64
        .size:           8
        .value_kind:     hidden_global_offset_x
      - .offset:         72
        .size:           8
        .value_kind:     hidden_global_offset_y
      - .offset:         80
        .size:           8
        .value_kind:     hidden_global_offset_z
      - .offset:         88
        .size:           2
        .value_kind:     hidden_grid_dims
    .group_segment_fixed_size: 0
    .kernarg_segment_align: 8
    .kernarg_segment_size: 280
    .language:       OpenCL C
    .language_version:
      - 2
      - 0
    .max_flat_workgroup_size: 1024
    .name:           _Z7softMaxiiPKfPf
    .private_segment_fixed_size: 0
    .sgpr_count:     22
    .sgpr_spill_count: 0
    .symbol:         _Z7softMaxiiPKfPf.kd
    .uniform_work_group_size: 1
    .uses_dynamic_stack: false
    .vgpr_count:     13
    .vgpr_spill_count: 0
    .wavefront_size: 64
  - .agpr_count:     0
    .args:
      - .offset:         0
        .size:           4
        .value_kind:     by_value
      - .offset:         4
        .size:           4
        .value_kind:     by_value
      - .address_space:  global
        .offset:         8
        .size:           8
        .value_kind:     global_buffer
      - .address_space:  global
        .offset:         16
        .size:           8
        .value_kind:     global_buffer
      - .offset:         24
        .size:           4
        .value_kind:     hidden_block_count_x
      - .offset:         28
        .size:           4
        .value_kind:     hidden_block_count_y
      - .offset:         32
        .size:           4
        .value_kind:     hidden_block_count_z
      - .offset:         36
        .size:           2
        .value_kind:     hidden_group_size_x
      - .offset:         38
        .size:           2
        .value_kind:     hidden_group_size_y
      - .offset:         40
        .size:           2
        .value_kind:     hidden_group_size_z
      - .offset:         42
        .size:           2
        .value_kind:     hidden_remainder_x
      - .offset:         44
        .size:           2
        .value_kind:     hidden_remainder_y
      - .offset:         46
        .size:           2
        .value_kind:     hidden_remainder_z
      - .offset:         64
        .size:           8
        .value_kind:     hidden_global_offset_x
      - .offset:         72
        .size:           8
        .value_kind:     hidden_global_offset_y
      - .offset:         80
        .size:           8
        .value_kind:     hidden_global_offset_z
      - .offset:         88
        .size:           2
        .value_kind:     hidden_grid_dims
    .group_segment_fixed_size: 0
    .kernarg_segment_align: 8
    .kernarg_segment_size: 280
    .language:       OpenCL C
    .language_version:
      - 2
      - 0
    .max_flat_workgroup_size: 1024
    .name:           _Z8softMax2iiPKfPf
    .private_segment_fixed_size: 0
    .sgpr_count:     26
    .sgpr_spill_count: 0
    .symbol:         _Z8softMax2iiPKfPf.kd
    .uniform_work_group_size: 1
    .uses_dynamic_stack: false
    .vgpr_count:     22
    .vgpr_spill_count: 0
    .wavefront_size: 64
amdhsa.target:   amdgcn-amd-amdhsa--gfx950
amdhsa.version:
  - 1
  - 2
...

	.end_amdgpu_metadata
